;; amdgpu-corpus repo=ROCm/rocFFT kind=compiled arch=gfx1201 opt=O3
	.text
	.amdgcn_target "amdgcn-amd-amdhsa--gfx1201"
	.amdhsa_code_object_version 6
	.protected	fft_rtc_fwd_len968_factors_2_2_2_11_11_wgs_176_tpt_88_dp_op_CI_CI_sbrr_dirReg ; -- Begin function fft_rtc_fwd_len968_factors_2_2_2_11_11_wgs_176_tpt_88_dp_op_CI_CI_sbrr_dirReg
	.globl	fft_rtc_fwd_len968_factors_2_2_2_11_11_wgs_176_tpt_88_dp_op_CI_CI_sbrr_dirReg
	.p2align	8
	.type	fft_rtc_fwd_len968_factors_2_2_2_11_11_wgs_176_tpt_88_dp_op_CI_CI_sbrr_dirReg,@function
fft_rtc_fwd_len968_factors_2_2_2_11_11_wgs_176_tpt_88_dp_op_CI_CI_sbrr_dirReg: ; @fft_rtc_fwd_len968_factors_2_2_2_11_11_wgs_176_tpt_88_dp_op_CI_CI_sbrr_dirReg
; %bb.0:
	s_clause 0x2
	s_load_b128 s[12:15], s[0:1], 0x18
	s_load_b128 s[8:11], s[0:1], 0x0
	;; [unrolled: 1-line block ×3, first 2 shown]
	v_mul_u32_u24_e32 v1, 0x2e9, v0
	v_mov_b32_e32 v4, 0
	v_mov_b32_e32 v5, 0
	s_wait_kmcnt 0x0
	s_load_b64 s[18:19], s[12:13], 0x0
	s_load_b64 s[16:17], s[14:15], 0x0
	v_lshrrev_b32_e32 v48, 16, v1
	v_mov_b32_e32 v1, 0
	v_cmp_lt_u64_e64 s2, s[10:11], 2
	s_delay_alu instid0(VALU_DEP_3) | instskip(NEXT) | instid1(VALU_DEP_3)
	v_lshl_add_u32 v6, ttmp9, 1, v48
	v_mov_b32_e32 v7, v1
	s_delay_alu instid0(VALU_DEP_3)
	s_and_b32 vcc_lo, exec_lo, s2
	s_cbranch_vccnz .LBB0_8
; %bb.1:
	s_load_b64 s[2:3], s[0:1], 0x10
	v_mov_b32_e32 v4, 0
	v_mov_b32_e32 v5, 0
	s_add_nc_u64 s[20:21], s[14:15], 8
	s_add_nc_u64 s[22:23], s[12:13], 8
	s_mov_b64 s[24:25], 1
	s_delay_alu instid0(VALU_DEP_1)
	v_dual_mov_b32 v53, v5 :: v_dual_mov_b32 v52, v4
	s_wait_kmcnt 0x0
	s_add_nc_u64 s[26:27], s[2:3], 8
	s_mov_b32 s3, 0
.LBB0_2:                                ; =>This Inner Loop Header: Depth=1
	s_load_b64 s[28:29], s[26:27], 0x0
                                        ; implicit-def: $vgpr54_vgpr55
	s_mov_b32 s2, exec_lo
	s_wait_kmcnt 0x0
	v_or_b32_e32 v2, s29, v7
	s_delay_alu instid0(VALU_DEP_1)
	v_cmpx_ne_u64_e32 0, v[1:2]
	s_wait_alu 0xfffe
	s_xor_b32 s30, exec_lo, s2
	s_cbranch_execz .LBB0_4
; %bb.3:                                ;   in Loop: Header=BB0_2 Depth=1
	s_cvt_f32_u32 s2, s28
	s_cvt_f32_u32 s31, s29
	s_sub_nc_u64 s[36:37], 0, s[28:29]
	s_wait_alu 0xfffe
	s_delay_alu instid0(SALU_CYCLE_1) | instskip(SKIP_1) | instid1(SALU_CYCLE_2)
	s_fmamk_f32 s2, s31, 0x4f800000, s2
	s_wait_alu 0xfffe
	v_s_rcp_f32 s2, s2
	s_delay_alu instid0(TRANS32_DEP_1) | instskip(SKIP_1) | instid1(SALU_CYCLE_2)
	s_mul_f32 s2, s2, 0x5f7ffffc
	s_wait_alu 0xfffe
	s_mul_f32 s31, s2, 0x2f800000
	s_wait_alu 0xfffe
	s_delay_alu instid0(SALU_CYCLE_2) | instskip(SKIP_1) | instid1(SALU_CYCLE_2)
	s_trunc_f32 s31, s31
	s_wait_alu 0xfffe
	s_fmamk_f32 s2, s31, 0xcf800000, s2
	s_cvt_u32_f32 s35, s31
	s_wait_alu 0xfffe
	s_delay_alu instid0(SALU_CYCLE_1) | instskip(SKIP_1) | instid1(SALU_CYCLE_2)
	s_cvt_u32_f32 s34, s2
	s_wait_alu 0xfffe
	s_mul_u64 s[38:39], s[36:37], s[34:35]
	s_wait_alu 0xfffe
	s_mul_hi_u32 s41, s34, s39
	s_mul_i32 s40, s34, s39
	s_mul_hi_u32 s2, s34, s38
	s_mul_i32 s33, s35, s38
	s_wait_alu 0xfffe
	s_add_nc_u64 s[40:41], s[2:3], s[40:41]
	s_mul_hi_u32 s31, s35, s38
	s_mul_hi_u32 s42, s35, s39
	s_add_co_u32 s2, s40, s33
	s_wait_alu 0xfffe
	s_add_co_ci_u32 s2, s41, s31
	s_mul_i32 s38, s35, s39
	s_add_co_ci_u32 s39, s42, 0
	s_wait_alu 0xfffe
	s_add_nc_u64 s[38:39], s[2:3], s[38:39]
	s_wait_alu 0xfffe
	v_add_co_u32 v2, s2, s34, s38
	s_delay_alu instid0(VALU_DEP_1) | instskip(SKIP_1) | instid1(VALU_DEP_1)
	s_cmp_lg_u32 s2, 0
	s_add_co_ci_u32 s35, s35, s39
	v_readfirstlane_b32 s34, v2
	s_wait_alu 0xfffe
	s_delay_alu instid0(VALU_DEP_1)
	s_mul_u64 s[36:37], s[36:37], s[34:35]
	s_wait_alu 0xfffe
	s_mul_hi_u32 s39, s34, s37
	s_mul_i32 s38, s34, s37
	s_mul_hi_u32 s2, s34, s36
	s_mul_i32 s33, s35, s36
	s_wait_alu 0xfffe
	s_add_nc_u64 s[38:39], s[2:3], s[38:39]
	s_mul_hi_u32 s31, s35, s36
	s_mul_hi_u32 s34, s35, s37
	s_wait_alu 0xfffe
	s_add_co_u32 s2, s38, s33
	s_add_co_ci_u32 s2, s39, s31
	s_mul_i32 s36, s35, s37
	s_add_co_ci_u32 s37, s34, 0
	s_wait_alu 0xfffe
	s_add_nc_u64 s[36:37], s[2:3], s[36:37]
	s_wait_alu 0xfffe
	v_add_co_u32 v8, s2, v2, s36
	s_delay_alu instid0(VALU_DEP_1) | instskip(SKIP_1) | instid1(VALU_DEP_1)
	s_cmp_lg_u32 s2, 0
	s_add_co_ci_u32 s2, s35, s37
	v_mul_hi_u32 v12, v6, v8
	s_wait_alu 0xfffe
	v_mad_co_u64_u32 v[2:3], null, v6, s2, 0
	v_mad_co_u64_u32 v[8:9], null, v7, v8, 0
	;; [unrolled: 1-line block ×3, first 2 shown]
	s_delay_alu instid0(VALU_DEP_3) | instskip(SKIP_1) | instid1(VALU_DEP_4)
	v_add_co_u32 v2, vcc_lo, v12, v2
	s_wait_alu 0xfffd
	v_add_co_ci_u32_e32 v3, vcc_lo, 0, v3, vcc_lo
	s_delay_alu instid0(VALU_DEP_2) | instskip(SKIP_1) | instid1(VALU_DEP_2)
	v_add_co_u32 v2, vcc_lo, v2, v8
	s_wait_alu 0xfffd
	v_add_co_ci_u32_e32 v2, vcc_lo, v3, v9, vcc_lo
	s_wait_alu 0xfffd
	v_add_co_ci_u32_e32 v3, vcc_lo, 0, v11, vcc_lo
	s_delay_alu instid0(VALU_DEP_2) | instskip(SKIP_1) | instid1(VALU_DEP_2)
	v_add_co_u32 v8, vcc_lo, v2, v10
	s_wait_alu 0xfffd
	v_add_co_ci_u32_e32 v9, vcc_lo, 0, v3, vcc_lo
	s_delay_alu instid0(VALU_DEP_2) | instskip(SKIP_1) | instid1(VALU_DEP_3)
	v_mul_lo_u32 v10, s29, v8
	v_mad_co_u64_u32 v[2:3], null, s28, v8, 0
	v_mul_lo_u32 v11, s28, v9
	s_delay_alu instid0(VALU_DEP_2) | instskip(NEXT) | instid1(VALU_DEP_2)
	v_sub_co_u32 v2, vcc_lo, v6, v2
	v_add3_u32 v3, v3, v11, v10
	s_delay_alu instid0(VALU_DEP_1) | instskip(SKIP_1) | instid1(VALU_DEP_1)
	v_sub_nc_u32_e32 v10, v7, v3
	s_wait_alu 0xfffd
	v_subrev_co_ci_u32_e64 v10, s2, s29, v10, vcc_lo
	v_add_co_u32 v11, s2, v8, 2
	s_wait_alu 0xf1ff
	v_add_co_ci_u32_e64 v12, s2, 0, v9, s2
	v_sub_co_u32 v13, s2, v2, s28
	v_sub_co_ci_u32_e32 v3, vcc_lo, v7, v3, vcc_lo
	s_wait_alu 0xf1ff
	v_subrev_co_ci_u32_e64 v10, s2, 0, v10, s2
	s_delay_alu instid0(VALU_DEP_3) | instskip(NEXT) | instid1(VALU_DEP_3)
	v_cmp_le_u32_e32 vcc_lo, s28, v13
	v_cmp_eq_u32_e64 s2, s29, v3
	s_wait_alu 0xfffd
	v_cndmask_b32_e64 v13, 0, -1, vcc_lo
	v_cmp_le_u32_e32 vcc_lo, s29, v10
	s_wait_alu 0xfffd
	v_cndmask_b32_e64 v14, 0, -1, vcc_lo
	v_cmp_le_u32_e32 vcc_lo, s28, v2
	;; [unrolled: 3-line block ×3, first 2 shown]
	s_wait_alu 0xfffd
	v_cndmask_b32_e64 v15, 0, -1, vcc_lo
	v_cmp_eq_u32_e32 vcc_lo, s29, v10
	s_wait_alu 0xf1ff
	s_delay_alu instid0(VALU_DEP_2)
	v_cndmask_b32_e64 v2, v15, v2, s2
	s_wait_alu 0xfffd
	v_cndmask_b32_e32 v10, v14, v13, vcc_lo
	v_add_co_u32 v13, vcc_lo, v8, 1
	s_wait_alu 0xfffd
	v_add_co_ci_u32_e32 v14, vcc_lo, 0, v9, vcc_lo
	s_delay_alu instid0(VALU_DEP_3) | instskip(SKIP_1) | instid1(VALU_DEP_2)
	v_cmp_ne_u32_e32 vcc_lo, 0, v10
	s_wait_alu 0xfffd
	v_dual_cndmask_b32 v3, v14, v12 :: v_dual_cndmask_b32 v10, v13, v11
	v_cmp_ne_u32_e32 vcc_lo, 0, v2
	s_wait_alu 0xfffd
	s_delay_alu instid0(VALU_DEP_2)
	v_dual_cndmask_b32 v55, v9, v3 :: v_dual_cndmask_b32 v54, v8, v10
.LBB0_4:                                ;   in Loop: Header=BB0_2 Depth=1
	s_wait_alu 0xfffe
	s_and_not1_saveexec_b32 s2, s30
	s_cbranch_execz .LBB0_6
; %bb.5:                                ;   in Loop: Header=BB0_2 Depth=1
	v_cvt_f32_u32_e32 v2, s28
	s_sub_co_i32 s30, 0, s28
	v_mov_b32_e32 v55, v1
	s_delay_alu instid0(VALU_DEP_2) | instskip(NEXT) | instid1(TRANS32_DEP_1)
	v_rcp_iflag_f32_e32 v2, v2
	v_mul_f32_e32 v2, 0x4f7ffffe, v2
	s_delay_alu instid0(VALU_DEP_1) | instskip(SKIP_1) | instid1(VALU_DEP_1)
	v_cvt_u32_f32_e32 v2, v2
	s_wait_alu 0xfffe
	v_mul_lo_u32 v3, s30, v2
	s_delay_alu instid0(VALU_DEP_1) | instskip(NEXT) | instid1(VALU_DEP_1)
	v_mul_hi_u32 v3, v2, v3
	v_add_nc_u32_e32 v2, v2, v3
	s_delay_alu instid0(VALU_DEP_1) | instskip(NEXT) | instid1(VALU_DEP_1)
	v_mul_hi_u32 v2, v6, v2
	v_mul_lo_u32 v3, v2, s28
	v_add_nc_u32_e32 v8, 1, v2
	s_delay_alu instid0(VALU_DEP_2) | instskip(NEXT) | instid1(VALU_DEP_1)
	v_sub_nc_u32_e32 v3, v6, v3
	v_subrev_nc_u32_e32 v9, s28, v3
	v_cmp_le_u32_e32 vcc_lo, s28, v3
	s_wait_alu 0xfffd
	s_delay_alu instid0(VALU_DEP_2) | instskip(NEXT) | instid1(VALU_DEP_1)
	v_dual_cndmask_b32 v3, v3, v9 :: v_dual_cndmask_b32 v2, v2, v8
	v_cmp_le_u32_e32 vcc_lo, s28, v3
	s_delay_alu instid0(VALU_DEP_2) | instskip(SKIP_1) | instid1(VALU_DEP_1)
	v_add_nc_u32_e32 v8, 1, v2
	s_wait_alu 0xfffd
	v_cndmask_b32_e32 v54, v2, v8, vcc_lo
.LBB0_6:                                ;   in Loop: Header=BB0_2 Depth=1
	s_wait_alu 0xfffe
	s_or_b32 exec_lo, exec_lo, s2
	v_mul_lo_u32 v8, v55, s28
	s_delay_alu instid0(VALU_DEP_2)
	v_mul_lo_u32 v9, v54, s29
	s_load_b64 s[30:31], s[22:23], 0x0
	v_mad_co_u64_u32 v[2:3], null, v54, s28, 0
	s_load_b64 s[28:29], s[20:21], 0x0
	s_add_nc_u64 s[24:25], s[24:25], 1
	s_add_nc_u64 s[20:21], s[20:21], 8
	s_wait_alu 0xfffe
	v_cmp_ge_u64_e64 s2, s[24:25], s[10:11]
	s_add_nc_u64 s[22:23], s[22:23], 8
	s_add_nc_u64 s[26:27], s[26:27], 8
	v_add3_u32 v3, v3, v9, v8
	v_sub_co_u32 v2, vcc_lo, v6, v2
	s_wait_alu 0xfffd
	s_delay_alu instid0(VALU_DEP_2) | instskip(SKIP_2) | instid1(VALU_DEP_1)
	v_sub_co_ci_u32_e32 v3, vcc_lo, v7, v3, vcc_lo
	s_and_b32 vcc_lo, exec_lo, s2
	s_wait_kmcnt 0x0
	v_mul_lo_u32 v6, s30, v3
	v_mul_lo_u32 v7, s31, v2
	v_mad_co_u64_u32 v[4:5], null, s30, v2, v[4:5]
	v_mul_lo_u32 v3, s28, v3
	v_mul_lo_u32 v8, s29, v2
	v_mad_co_u64_u32 v[52:53], null, s28, v2, v[52:53]
	s_delay_alu instid0(VALU_DEP_4) | instskip(NEXT) | instid1(VALU_DEP_2)
	v_add3_u32 v5, v7, v5, v6
	v_add3_u32 v53, v8, v53, v3
	s_wait_alu 0xfffe
	s_cbranch_vccnz .LBB0_9
; %bb.7:                                ;   in Loop: Header=BB0_2 Depth=1
	v_dual_mov_b32 v6, v54 :: v_dual_mov_b32 v7, v55
	s_branch .LBB0_2
.LBB0_8:
	v_dual_mov_b32 v53, v5 :: v_dual_mov_b32 v52, v4
	s_delay_alu instid0(VALU_DEP_2)
	v_dual_mov_b32 v55, v7 :: v_dual_mov_b32 v54, v6
.LBB0_9:
	s_load_b64 s[0:1], s[0:1], 0x28
	v_mul_hi_u32 v1, 0x2e8ba2f, v0
	s_lshl_b64 s[10:11], s[10:11], 3
                                        ; implicit-def: $vgpr61
                                        ; implicit-def: $vgpr49
                                        ; implicit-def: $vgpr50
                                        ; implicit-def: $vgpr51
                                        ; implicit-def: $vgpr65
	s_wait_alu 0xfffe
	s_add_nc_u64 s[2:3], s[14:15], s[10:11]
                                        ; implicit-def: $sgpr14
	s_wait_kmcnt 0x0
	v_cmp_gt_u64_e32 vcc_lo, s[0:1], v[54:55]
	v_cmp_le_u64_e64 s0, s[0:1], v[54:55]
	s_delay_alu instid0(VALU_DEP_1)
	s_and_saveexec_b32 s1, s0
	s_wait_alu 0xfffe
	s_xor_b32 s0, exec_lo, s1
; %bb.10:
	v_mul_u32_u24_e32 v1, 0x58, v1
	s_mov_b32 s14, 0
                                        ; implicit-def: $vgpr4_vgpr5
	s_delay_alu instid0(VALU_DEP_1) | instskip(NEXT) | instid1(VALU_DEP_1)
	v_sub_nc_u32_e32 v61, v0, v1
                                        ; implicit-def: $vgpr1
                                        ; implicit-def: $vgpr0
	v_add_nc_u32_e32 v49, 0x58, v61
	v_add_nc_u32_e32 v50, 0xb0, v61
	;; [unrolled: 1-line block ×4, first 2 shown]
; %bb.11:
	s_wait_alu 0xfffe
	s_or_saveexec_b32 s1, s0
	s_load_b64 s[2:3], s[2:3], 0x0
	v_mov_b32_e32 v56, s14
                                        ; implicit-def: $vgpr46_vgpr47
                                        ; implicit-def: $vgpr42_vgpr43
                                        ; implicit-def: $vgpr30_vgpr31
                                        ; implicit-def: $vgpr18_vgpr19
                                        ; implicit-def: $vgpr34_vgpr35
                                        ; implicit-def: $vgpr22_vgpr23
                                        ; implicit-def: $vgpr38_vgpr39
                                        ; implicit-def: $vgpr26_vgpr27
                                        ; implicit-def: $vgpr14_vgpr15
                                        ; implicit-def: $vgpr10_vgpr11
                                        ; implicit-def: $vgpr6_vgpr7
                                        ; implicit-def: $vgpr2_vgpr3
	s_xor_b32 exec_lo, exec_lo, s1
	s_cbranch_execz .LBB0_15
; %bb.12:
	s_add_nc_u64 s[10:11], s[12:13], s[10:11]
	v_mul_u32_u24_e32 v1, 0x58, v1
	s_load_b64 s[10:11], s[10:11], 0x0
	v_lshlrev_b64_e32 v[4:5], 4, v[4:5]
                                        ; implicit-def: $vgpr44_vgpr45
	s_delay_alu instid0(VALU_DEP_2) | instskip(NEXT) | instid1(VALU_DEP_1)
	v_sub_nc_u32_e32 v61, v0, v1
	v_add_nc_u32_e32 v14, 0x1e4, v61
	v_add_nc_u32_e32 v49, 0x58, v61
	v_mad_co_u64_u32 v[0:1], null, s18, v61, 0
	v_add_nc_u32_e32 v65, 0x160, v61
	s_delay_alu instid0(VALU_DEP_4) | instskip(NEXT) | instid1(VALU_DEP_4)
	v_mad_co_u64_u32 v[2:3], null, s18, v14, 0
	v_mad_co_u64_u32 v[6:7], null, s18, v49, 0
	v_add_nc_u32_e32 v16, 0x23c, v61
	s_delay_alu instid0(VALU_DEP_4)
	v_mad_co_u64_u32 v[25:26], null, s18, v65, 0
	s_wait_kmcnt 0x0
	v_mul_lo_u32 v15, s11, v54
	v_mul_lo_u32 v17, s10, v55
	v_mad_co_u64_u32 v[10:11], null, s10, v54, 0
	v_mad_co_u64_u32 v[12:13], null, s19, v61, v[1:2]
	v_mov_b32_e32 v1, v3
	v_mov_b32_e32 v3, v7
	v_mad_co_u64_u32 v[8:9], null, s18, v16, 0
	v_add3_u32 v11, v11, v17, v15
	s_delay_alu instid0(VALU_DEP_4) | instskip(NEXT) | instid1(VALU_DEP_4)
	v_mad_co_u64_u32 v[13:14], null, s19, v14, v[1:2]
	v_mad_co_u64_u32 v[14:15], null, s19, v49, v[3:4]
	s_delay_alu instid0(VALU_DEP_4) | instskip(NEXT) | instid1(VALU_DEP_4)
	v_dual_mov_b32 v7, v9 :: v_dual_add_nc_u32 v50, 0xb0, v61
	v_lshlrev_b64_e32 v[9:10], 4, v[10:11]
	v_add_nc_u32_e32 v15, 0x294, v61
	v_dual_mov_b32 v3, v13 :: v_dual_add_nc_u32 v30, 0x344, v61
	v_add_nc_u32_e32 v51, 0x108, v61
	v_add_nc_u32_e32 v27, 0x2ec, v61
	s_delay_alu instid0(VALU_DEP_4)
	v_mad_co_u64_u32 v[18:19], null, s18, v15, 0
	v_mov_b32_e32 v1, v12
	v_add_co_u32 v9, s0, s4, v9
	s_wait_alu 0xf1ff
	v_add_co_ci_u32_e64 v10, s0, s5, v10, s0
	v_mad_co_u64_u32 v[11:12], null, s19, v16, v[7:8]
	v_lshlrev_b64_e32 v[0:1], 4, v[0:1]
	v_mov_b32_e32 v7, v14
	v_add_co_u32 v42, s0, v9, v4
	s_wait_alu 0xf1ff
	v_add_co_ci_u32_e64 v43, s0, v10, v5, s0
	v_lshlrev_b64_e32 v[2:3], 4, v[2:3]
	v_mad_co_u64_u32 v[16:17], null, s18, v50, 0
	v_add_co_u32 v0, s0, v42, v0
	v_lshlrev_b64_e32 v[12:13], 4, v[6:7]
	v_mov_b32_e32 v9, v11
	s_wait_alu 0xf1ff
	v_add_co_ci_u32_e64 v1, s0, v43, v1, s0
	v_add_co_u32 v4, s0, v42, v2
	s_wait_alu 0xf1ff
	v_add_co_ci_u32_e64 v5, s0, v43, v3, s0
	v_add_co_u32 v10, s0, v42, v12
	v_mov_b32_e32 v12, v17
	v_lshlrev_b64_e32 v[8:9], 4, v[8:9]
	s_wait_alu 0xf1ff
	v_add_co_ci_u32_e64 v11, s0, v43, v13, s0
	v_mad_co_u64_u32 v[20:21], null, s18, v51, 0
	v_mad_co_u64_u32 v[12:13], null, s19, v50, v[12:13]
	s_delay_alu instid0(VALU_DEP_4)
	v_add_co_u32 v13, s0, v42, v8
	v_mov_b32_e32 v8, v19
	s_wait_alu 0xf1ff
	v_add_co_ci_u32_e64 v14, s0, v43, v9, s0
	s_clause 0x1
	global_load_b128 v[0:3], v[0:1], off
	global_load_b128 v[4:7], v[4:5], off
	v_mov_b32_e32 v17, v12
	v_mad_co_u64_u32 v[22:23], null, s19, v15, v[8:9]
	v_mad_co_u64_u32 v[23:24], null, s18, v27, 0
	s_delay_alu instid0(VALU_DEP_3)
	v_lshlrev_b64_e32 v[16:17], 4, v[16:17]
	s_clause 0x1
	global_load_b128 v[8:11], v[10:11], off
	global_load_b128 v[12:15], v[13:14], off
	s_mov_b32 s4, exec_lo
	v_mov_b32_e32 v19, v22
	v_mad_co_u64_u32 v[21:22], null, s19, v51, v[21:22]
	v_mov_b32_e32 v22, v24
	v_add_co_u32 v16, s0, v42, v16
	s_delay_alu instid0(VALU_DEP_4)
	v_lshlrev_b64_e32 v[18:19], 4, v[18:19]
	s_wait_alu 0xf1ff
	v_add_co_ci_u32_e64 v17, s0, v43, v17, s0
	v_mad_co_u64_u32 v[27:28], null, s19, v27, v[22:23]
	v_mov_b32_e32 v22, v26
	v_mad_co_u64_u32 v[28:29], null, s18, v30, 0
	v_lshlrev_b64_e32 v[20:21], 4, v[20:21]
	v_add_co_u32 v18, s0, v42, v18
	v_mov_b32_e32 v24, v27
	v_mad_co_u64_u32 v[26:27], null, s19, v65, v[22:23]
	v_mov_b32_e32 v22, v29
	s_wait_alu 0xf1ff
	v_add_co_ci_u32_e64 v19, s0, v43, v19, s0
	v_add_co_u32 v20, s0, v42, v20
	s_delay_alu instid0(VALU_DEP_3) | instskip(SKIP_4) | instid1(VALU_DEP_3)
	v_mad_co_u64_u32 v[29:30], null, s19, v30, v[22:23]
	v_lshlrev_b64_e32 v[22:23], 4, v[23:24]
	s_wait_alu 0xf1ff
	v_add_co_ci_u32_e64 v21, s0, v43, v21, s0
	v_lshlrev_b64_e32 v[24:25], 4, v[25:26]
	v_add_co_u32 v30, s0, v42, v22
	s_wait_alu 0xf1ff
	v_add_co_ci_u32_e64 v31, s0, v43, v23, s0
	v_lshlrev_b64_e32 v[22:23], 4, v[28:29]
	s_delay_alu instid0(VALU_DEP_4) | instskip(SKIP_2) | instid1(VALU_DEP_3)
	v_add_co_u32 v28, s0, v42, v24
	s_wait_alu 0xf1ff
	v_add_co_ci_u32_e64 v29, s0, v43, v25, s0
	v_add_co_u32 v40, s0, v42, v22
	s_wait_alu 0xf1ff
	v_add_co_ci_u32_e64 v41, s0, v43, v23, s0
	s_clause 0x5
	global_load_b128 v[24:27], v[16:17], off
	global_load_b128 v[36:39], v[18:19], off
	;; [unrolled: 1-line block ×6, first 2 shown]
                                        ; implicit-def: $vgpr40_vgpr41
	v_cmpx_gt_u32_e32 44, v61
	s_cbranch_execz .LBB0_14
; %bb.13:
	v_add_nc_u32_e32 v46, 0x1b8, v61
	s_delay_alu instid0(VALU_DEP_1) | instskip(NEXT) | instid1(VALU_DEP_1)
	v_mad_co_u64_u32 v[40:41], null, s18, v46, 0
	v_mad_co_u64_u32 v[46:47], null, s19, v46, v[41:42]
	s_delay_alu instid0(VALU_DEP_1) | instskip(NEXT) | instid1(VALU_DEP_1)
	v_dual_mov_b32 v41, v46 :: v_dual_add_nc_u32 v56, 0x39c, v61
	v_mad_co_u64_u32 v[44:45], null, s18, v56, 0
	s_delay_alu instid0(VALU_DEP_2) | instskip(NEXT) | instid1(VALU_DEP_2)
	v_lshlrev_b64_e32 v[40:41], 4, v[40:41]
	v_mad_co_u64_u32 v[56:57], null, s19, v56, v[45:46]
	s_delay_alu instid0(VALU_DEP_2) | instskip(SKIP_1) | instid1(VALU_DEP_3)
	v_add_co_u32 v40, s0, v42, v40
	s_wait_alu 0xf1ff
	v_add_co_ci_u32_e64 v41, s0, v43, v41, s0
	s_delay_alu instid0(VALU_DEP_3) | instskip(NEXT) | instid1(VALU_DEP_1)
	v_mov_b32_e32 v45, v56
	v_lshlrev_b64_e32 v[44:45], 4, v[44:45]
	s_delay_alu instid0(VALU_DEP_1) | instskip(SKIP_1) | instid1(VALU_DEP_2)
	v_add_co_u32 v44, s0, v42, v44
	s_wait_alu 0xf1ff
	v_add_co_ci_u32_e64 v45, s0, v43, v45, s0
	s_clause 0x1
	global_load_b128 v[40:43], v[40:41], off
	global_load_b128 v[44:47], v[44:45], off
.LBB0_14:
	s_wait_alu 0xfffe
	s_or_b32 exec_lo, exec_lo, s4
	v_mov_b32_e32 v56, v61
.LBB0_15:
	s_or_b32 exec_lo, exec_lo, s1
	s_wait_loadcnt 0x8
	v_add_f64_e64 v[57:58], v[0:1], -v[4:5]
	v_add_f64_e64 v[59:60], v[2:3], -v[6:7]
	s_wait_loadcnt 0x0
	v_add_f64_e64 v[4:5], v[40:41], -v[44:45]
	v_add_f64_e64 v[6:7], v[42:43], -v[46:47]
	;; [unrolled: 1-line block ×10, first 2 shown]
	v_fma_f64 v[44:45], v[0:1], 2.0, -v[57:58]
	v_fma_f64 v[46:47], v[2:3], 2.0, -v[59:60]
	;; [unrolled: 1-line block ×12, first 2 shown]
	v_and_b32_e32 v8, 1, v48
	v_lshlrev_b32_e32 v40, 5, v61
	v_lshl_add_u32 v9, v50, 5, 0
	v_lshl_add_u32 v11, v65, 5, 0
	v_add_nc_u32_e32 v48, 0x1b8, v61
	v_cmp_eq_u32_e64 s0, 1, v8
	v_lshl_add_u32 v8, v49, 5, 0
	s_wait_alu 0xf1ff
	s_delay_alu instid0(VALU_DEP_2) | instskip(SKIP_1) | instid1(VALU_DEP_2)
	v_cndmask_b32_e64 v10, 0, 0x3c8, s0
	v_cmp_gt_u32_e64 s0, 44, v61
	v_lshlrev_b32_e32 v64, 4, v10
	v_lshl_add_u32 v10, v51, 5, 0
	s_delay_alu instid0(VALU_DEP_2) | instskip(SKIP_2) | instid1(VALU_DEP_4)
	v_add3_u32 v40, 0, v40, v64
	v_add_nc_u32_e32 v41, v8, v64
	v_add_nc_u32_e32 v42, v9, v64
	;; [unrolled: 1-line block ×4, first 2 shown]
	ds_store_b128 v40, v[44:47]
	ds_store_b128 v40, v[57:60] offset:16
	ds_store_b128 v41, v[66:69]
	ds_store_b128 v41, v[12:15] offset:16
	;; [unrolled: 2-line block ×5, first 2 shown]
	s_and_saveexec_b32 s1, s0
	s_cbranch_execz .LBB0_17
; %bb.16:
	v_lshlrev_b32_e32 v12, 5, v48
	s_delay_alu instid0(VALU_DEP_1)
	v_add3_u32 v12, 0, v12, v64
	ds_store_b128 v12, v[0:3]
	ds_store_b128 v12, v[4:7] offset:16
.LBB0_17:
	s_wait_alu 0xfffe
	s_or_b32 exec_lo, exec_lo, s1
	v_lshlrev_b32_e32 v13, 4, v49
	v_lshlrev_b32_e32 v14, 4, v50
	;; [unrolled: 1-line block ×4, first 2 shown]
	global_wb scope:SCOPE_SE
	s_wait_dscnt 0x0
	v_sub_nc_u32_e32 v8, v8, v13
	v_lshlrev_b32_e32 v13, 4, v51
	v_sub_nc_u32_e32 v9, v9, v14
	v_add3_u32 v57, 0, v64, v12
	v_add3_u32 v58, 0, v12, v64
	v_add_nc_u32_e32 v62, v8, v64
	v_sub_nc_u32_e32 v12, v10, v13
	v_sub_nc_u32_e32 v13, v11, v15
	v_add_nc_u32_e32 v59, v9, v64
	s_wait_kmcnt 0x0
	s_barrier_signal -1
	s_barrier_wait -1
	v_add_nc_u32_e32 v60, v12, v64
	global_inv scope:SCOPE_SE
	ds_load_b128 v[8:11], v57
	ds_load_b128 v[28:31], v58 offset:7744
	v_add_nc_u32_e32 v63, v13, v64
	ds_load_b128 v[20:23], v62
	ds_load_b128 v[12:15], v59
	ds_load_b128 v[40:43], v58 offset:9152
	ds_load_b128 v[32:35], v58 offset:10560
	ds_load_b128 v[24:27], v60
	ds_load_b128 v[16:19], v63
	ds_load_b128 v[44:47], v58 offset:11968
	ds_load_b128 v[36:39], v58 offset:13376
	v_lshlrev_b32_e32 v69, 1, v61
	v_lshlrev_b32_e32 v68, 1, v49
	;; [unrolled: 1-line block ×5, first 2 shown]
	s_and_saveexec_b32 s1, s0
	s_cbranch_execz .LBB0_19
; %bb.18:
	ds_load_b128 v[0:3], v58 offset:7040
	ds_load_b128 v[4:7], v58 offset:14784
.LBB0_19:
	s_wait_alu 0xfffe
	s_or_b32 exec_lo, exec_lo, s1
	v_and_b32_e32 v49, 1, v61
	s_delay_alu instid0(VALU_DEP_1)
	v_lshlrev_b32_e32 v50, 4, v49
	global_load_b128 v[70:73], v50, s[8:9]
	global_wb scope:SCOPE_SE
	s_wait_loadcnt_dscnt 0x0
	s_barrier_signal -1
	s_barrier_wait -1
	global_inv scope:SCOPE_SE
	v_mul_f64_e32 v[50:51], v[30:31], v[72:73]
	v_mul_f64_e32 v[74:75], v[28:29], v[72:73]
	v_mul_f64_e32 v[76:77], v[42:43], v[72:73]
	v_mul_f64_e32 v[78:79], v[40:41], v[72:73]
	v_mul_f64_e32 v[80:81], v[34:35], v[72:73]
	v_mul_f64_e32 v[82:83], v[32:33], v[72:73]
	v_mul_f64_e32 v[84:85], v[46:47], v[72:73]
	v_mul_f64_e32 v[86:87], v[44:45], v[72:73]
	v_mul_f64_e32 v[88:89], v[38:39], v[72:73]
	v_mul_f64_e32 v[90:91], v[36:37], v[72:73]
	v_mul_f64_e32 v[92:93], v[6:7], v[72:73]
	v_mul_f64_e32 v[72:73], v[4:5], v[72:73]
	v_fma_f64 v[28:29], v[28:29], v[70:71], -v[50:51]
	v_fma_f64 v[30:31], v[30:31], v[70:71], v[74:75]
	v_fma_f64 v[40:41], v[40:41], v[70:71], -v[76:77]
	v_fma_f64 v[42:43], v[42:43], v[70:71], v[78:79]
	;; [unrolled: 2-line block ×6, first 2 shown]
	v_lshlrev_b32_e32 v70, 1, v48
	v_and_or_b32 v48, 0xfc, v69, v49
	v_and_or_b32 v71, 0x3fc, v66, v49
	;; [unrolled: 1-line block ×3, first 2 shown]
	s_delay_alu instid0(VALU_DEP_3) | instskip(NEXT) | instid1(VALU_DEP_3)
	v_lshlrev_b32_e32 v48, 4, v48
	v_lshlrev_b32_e32 v71, 4, v71
	s_delay_alu instid0(VALU_DEP_3) | instskip(NEXT) | instid1(VALU_DEP_3)
	v_lshlrev_b32_e32 v72, 4, v72
	v_add3_u32 v48, 0, v48, v64
	s_delay_alu instid0(VALU_DEP_3) | instskip(NEXT) | instid1(VALU_DEP_3)
	v_add3_u32 v71, 0, v71, v64
	v_add3_u32 v72, 0, v72, v64
	v_add_f64_e64 v[28:29], v[8:9], -v[28:29]
	v_add_f64_e64 v[30:31], v[10:11], -v[30:31]
	;; [unrolled: 1-line block ×12, first 2 shown]
	v_and_or_b32 v50, 0x1fc, v68, v49
	v_and_or_b32 v51, 0x3fc, v67, v49
	s_delay_alu instid0(VALU_DEP_2) | instskip(NEXT) | instid1(VALU_DEP_2)
	v_lshlrev_b32_e32 v50, 4, v50
	v_lshlrev_b32_e32 v51, 4, v51
	s_delay_alu instid0(VALU_DEP_2) | instskip(NEXT) | instid1(VALU_DEP_2)
	v_add3_u32 v50, 0, v50, v64
	v_add3_u32 v51, 0, v51, v64
	v_fma_f64 v[8:9], v[8:9], 2.0, -v[28:29]
	v_fma_f64 v[10:11], v[10:11], 2.0, -v[30:31]
	;; [unrolled: 1-line block ×12, first 2 shown]
	ds_store_b128 v48, v[8:11]
	ds_store_b128 v48, v[28:31] offset:32
	ds_store_b128 v50, v[20:23]
	ds_store_b128 v50, v[32:35] offset:32
	;; [unrolled: 2-line block ×5, first 2 shown]
	s_and_saveexec_b32 s1, s0
	s_cbranch_execz .LBB0_21
; %bb.20:
	v_and_or_b32 v8, 0x3fc, v70, v49
	s_delay_alu instid0(VALU_DEP_1) | instskip(NEXT) | instid1(VALU_DEP_1)
	v_lshlrev_b32_e32 v8, 4, v8
	v_add3_u32 v8, 0, v8, v64
	ds_store_b128 v8, v[0:3]
	ds_store_b128 v8, v[4:7] offset:32
.LBB0_21:
	s_wait_alu 0xfffe
	s_or_b32 exec_lo, exec_lo, s1
	global_wb scope:SCOPE_SE
	s_wait_dscnt 0x0
	s_barrier_signal -1
	s_barrier_wait -1
	global_inv scope:SCOPE_SE
	ds_load_b128 v[12:15], v57
	ds_load_b128 v[32:35], v58 offset:7744
	ds_load_b128 v[16:19], v62
	ds_load_b128 v[20:23], v59
	ds_load_b128 v[40:43], v58 offset:9152
	ds_load_b128 v[36:39], v58 offset:10560
	ds_load_b128 v[24:27], v60
	ds_load_b128 v[8:11], v63
	ds_load_b128 v[48:51], v58 offset:11968
	ds_load_b128 v[44:47], v58 offset:13376
	s_and_saveexec_b32 s1, s0
	s_cbranch_execz .LBB0_23
; %bb.22:
	ds_load_b128 v[0:3], v58 offset:7040
	ds_load_b128 v[4:7], v58 offset:14784
.LBB0_23:
	s_wait_alu 0xfffe
	s_or_b32 exec_lo, exec_lo, s1
	v_and_b32_e32 v71, 3, v61
	s_delay_alu instid0(VALU_DEP_1)
	v_lshlrev_b32_e32 v28, 4, v71
	v_and_or_b32 v69, 0xf8, v69, v71
	v_and_or_b32 v68, 0x1f8, v68, v71
	;; [unrolled: 1-line block ×4, first 2 shown]
	global_load_b128 v[28:31], v28, s[8:9] offset:32
	v_and_or_b32 v65, 0x3f8, v65, v71
	v_lshlrev_b32_e32 v69, 4, v69
	v_lshlrev_b32_e32 v68, 4, v68
	v_lshlrev_b32_e32 v67, 4, v67
	v_lshlrev_b32_e32 v66, 4, v66
	v_lshlrev_b32_e32 v65, 4, v65
	v_add3_u32 v69, 0, v69, v64
	v_add3_u32 v68, 0, v68, v64
	;; [unrolled: 1-line block ×3, first 2 shown]
	global_wb scope:SCOPE_SE
	s_wait_loadcnt_dscnt 0x0
	s_barrier_signal -1
	s_barrier_wait -1
	global_inv scope:SCOPE_SE
	v_add3_u32 v66, 0, v66, v64
	v_add3_u32 v65, 0, v65, v64
	v_mul_f64_e32 v[72:73], v[34:35], v[30:31]
	v_mul_f64_e32 v[74:75], v[32:33], v[30:31]
	;; [unrolled: 1-line block ×10, first 2 shown]
	v_fma_f64 v[32:33], v[32:33], v[28:29], -v[72:73]
	v_fma_f64 v[34:35], v[34:35], v[28:29], v[74:75]
	v_fma_f64 v[40:41], v[40:41], v[28:29], -v[76:77]
	v_fma_f64 v[42:43], v[42:43], v[28:29], v[78:79]
	;; [unrolled: 2-line block ×5, first 2 shown]
	v_add_f64_e64 v[32:33], v[12:13], -v[32:33]
	v_add_f64_e64 v[34:35], v[14:15], -v[34:35]
	;; [unrolled: 1-line block ×10, first 2 shown]
	v_fma_f64 v[12:13], v[12:13], 2.0, -v[32:33]
	v_fma_f64 v[14:15], v[14:15], 2.0, -v[34:35]
	;; [unrolled: 1-line block ×10, first 2 shown]
	ds_store_b128 v69, v[12:15]
	ds_store_b128 v69, v[32:35] offset:64
	ds_store_b128 v68, v[16:19]
	ds_store_b128 v68, v[36:39] offset:64
	;; [unrolled: 2-line block ×5, first 2 shown]
	s_and_saveexec_b32 s1, s0
	s_cbranch_execz .LBB0_25
; %bb.24:
	v_mul_f64_e32 v[8:9], v[4:5], v[30:31]
	v_mul_f64_e32 v[10:11], v[6:7], v[30:31]
	s_delay_alu instid0(VALU_DEP_2) | instskip(NEXT) | instid1(VALU_DEP_2)
	v_fma_f64 v[6:7], v[6:7], v[28:29], v[8:9]
	v_fma_f64 v[4:5], v[4:5], v[28:29], -v[10:11]
	v_and_or_b32 v8, 0x3f8, v70, v71
	s_delay_alu instid0(VALU_DEP_1) | instskip(NEXT) | instid1(VALU_DEP_1)
	v_lshlrev_b32_e32 v8, 4, v8
	v_add3_u32 v8, 0, v8, v64
	v_add_f64_e64 v[6:7], v[2:3], -v[6:7]
	v_add_f64_e64 v[4:5], v[0:1], -v[4:5]
	s_delay_alu instid0(VALU_DEP_2) | instskip(NEXT) | instid1(VALU_DEP_2)
	v_fma_f64 v[2:3], v[2:3], 2.0, -v[6:7]
	v_fma_f64 v[0:1], v[0:1], 2.0, -v[4:5]
	ds_store_b128 v8, v[0:3]
	ds_store_b128 v8, v[4:7] offset:64
.LBB0_25:
	s_wait_alu 0xfffe
	s_or_b32 exec_lo, exec_lo, s1
	v_and_b32_e32 v28, 7, v61
	global_wb scope:SCOPE_SE
	s_wait_dscnt 0x0
	s_barrier_signal -1
	s_barrier_wait -1
	global_inv scope:SCOPE_SE
	v_mul_u32_u24_e32 v0, 10, v28
	s_mov_b32 s0, 0xf8bb580b
	s_mov_b32 s10, 0x8eee2c13
	;; [unrolled: 1-line block ×4, first 2 shown]
	v_lshlrev_b32_e32 v4, 4, v0
	s_mov_b32 s24, 0x43842ef
	s_mov_b32 s25, 0xbfefac9e
	;; [unrolled: 1-line block ×4, first 2 shown]
	s_clause 0x9
	global_load_b128 v[0:3], v4, s[8:9] offset:96
	global_load_b128 v[20:23], v4, s[8:9] offset:240
	;; [unrolled: 1-line block ×10, first 2 shown]
	ds_load_b128 v[41:44], v62
	ds_load_b128 v[45:48], v58 offset:14080
	ds_load_b128 v[65:68], v59
	ds_load_b128 v[69:72], v60
	ds_load_b128 v[73:76], v58 offset:12672
	ds_load_b128 v[77:80], v58 offset:11264
	ds_load_b128 v[81:84], v63
	ds_load_b128 v[85:88], v58 offset:8448
	ds_load_b128 v[89:92], v58 offset:9856
	;; [unrolled: 1-line block ×3, first 2 shown]
	s_mov_b32 s12, 0xfd768dbf
	s_mov_b32 s13, 0xbfd207e7
	;; [unrolled: 1-line block ×15, first 2 shown]
	s_wait_alu 0xfffe
	s_mov_b32 s36, s24
	s_mov_b32 s28, s0
	s_mov_b32 s19, 0xbfeeb42a
	s_mov_b32 s35, 0x3fed1bb4
	s_mov_b32 s34, s10
	s_wait_loadcnt_dscnt 0x909
	v_mul_f64_e32 v[49:50], v[43:44], v[2:3]
	v_mul_f64_e32 v[2:3], v[41:42], v[2:3]
	s_wait_loadcnt_dscnt 0x808
	v_mul_f64_e32 v[97:98], v[45:46], v[22:23]
	v_mul_f64_e32 v[22:23], v[47:48], v[22:23]
	;; [unrolled: 3-line block ×6, first 2 shown]
	s_wait_loadcnt 0x0
	v_mul_f64_e32 v[117:118], v[87:88], v[6:7]
	v_mul_f64_e32 v[119:120], v[85:86], v[6:7]
	;; [unrolled: 1-line block ×5, first 2 shown]
	v_fma_f64 v[41:42], v[41:42], v[0:1], -v[49:50]
	v_fma_f64 v[43:44], v[43:44], v[0:1], v[2:3]
	ds_load_b128 v[0:3], v57
	v_fma_f64 v[6:7], v[47:48], v[20:21], v[97:98]
	v_fma_f64 v[10:11], v[45:46], v[20:21], -v[22:23]
	v_fma_f64 v[45:46], v[65:66], v[24:25], -v[99:100]
	v_fma_f64 v[47:48], v[67:68], v[24:25], v[26:27]
	v_fma_f64 v[24:25], v[69:70], v[29:30], -v[101:102]
	v_fma_f64 v[26:27], v[71:72], v[29:30], v[31:32]
	v_mul_f64_e32 v[49:50], v[83:84], v[18:19]
	v_fma_f64 v[20:21], v[79:80], v[37:38], v[105:106]
	v_fma_f64 v[22:23], v[77:78], v[37:38], -v[39:40]
	s_wait_dscnt 0x1
	v_mul_f64_e32 v[109:110], v[95:96], v[14:15]
	v_mul_f64_e32 v[111:112], v[93:94], v[14:15]
	v_fma_f64 v[14:15], v[75:76], v[33:34], v[103:104]
	v_fma_f64 v[18:19], v[73:74], v[33:34], -v[35:36]
	v_fma_f64 v[37:38], v[91:92], v[8:9], v[113:114]
	v_fma_f64 v[8:9], v[89:90], v[8:9], -v[115:116]
	v_fma_f64 v[39:40], v[85:86], v[4:5], -v[117:118]
	v_fma_f64 v[4:5], v[87:88], v[4:5], v[119:120]
	global_wb scope:SCOPE_SE
	s_wait_dscnt 0x0
	s_barrier_signal -1
	s_barrier_wait -1
	global_inv scope:SCOPE_SE
	v_add_f64_e32 v[29:30], v[0:1], v[41:42]
	v_add_f64_e32 v[31:32], v[2:3], v[43:44]
	v_add_f64_e64 v[65:66], v[41:42], -v[10:11]
	v_add_f64_e32 v[41:42], v[41:42], v[10:11]
	v_fma_f64 v[33:34], v[81:82], v[16:17], -v[49:50]
	v_add_f64_e64 v[49:50], v[43:44], -v[6:7]
	v_fma_f64 v[16:17], v[83:84], v[16:17], v[107:108]
	v_add_f64_e64 v[71:72], v[26:27], -v[20:21]
	v_add_f64_e64 v[73:74], v[24:25], -v[22:23]
	v_add_f64_e32 v[75:76], v[24:25], v[22:23]
	v_add_f64_e32 v[77:78], v[26:27], v[20:21]
	v_fma_f64 v[35:36], v[93:94], v[12:13], -v[109:110]
	v_fma_f64 v[12:13], v[95:96], v[12:13], v[111:112]
	v_add_f64_e64 v[67:68], v[47:48], -v[14:15]
	v_add_f64_e64 v[69:70], v[45:46], -v[18:19]
	v_add_f64_e32 v[43:44], v[43:44], v[6:7]
	v_add_f64_e32 v[29:30], v[29:30], v[45:46]
	;; [unrolled: 1-line block ×5, first 2 shown]
	v_mul_f64_e32 v[97:98], s[0:1], v[65:66]
	v_mul_f64_e32 v[101:102], s[10:11], v[65:66]
	;; [unrolled: 1-line block ×5, first 2 shown]
	v_add_f64_e32 v[81:82], v[33:34], v[8:9]
	v_mul_f64_e32 v[95:96], s[0:1], v[49:50]
	v_mul_f64_e32 v[99:100], s[10:11], v[49:50]
	;; [unrolled: 1-line block ×5, first 2 shown]
	v_add_f64_e64 v[79:80], v[16:17], -v[37:38]
	v_add_f64_e32 v[93:94], v[16:17], v[37:38]
	v_add_f64_e64 v[91:92], v[33:34], -v[8:9]
	v_mul_f64_e32 v[111:112], s[10:11], v[67:68]
	v_mul_f64_e32 v[113:114], s[10:11], v[69:70]
	;; [unrolled: 1-line block ×4, first 2 shown]
	s_wait_alu 0xfffe
	v_mul_f64_e32 v[125:126], s[36:37], v[67:68]
	v_mul_f64_e32 v[129:130], s[36:37], v[69:70]
	v_add_f64_e64 v[87:88], v[12:13], -v[4:5]
	v_add_f64_e32 v[89:90], v[12:13], v[4:5]
	v_mul_f64_e32 v[115:116], s[24:25], v[71:72]
	v_mul_f64_e32 v[119:120], s[26:27], v[71:72]
	;; [unrolled: 1-line block ×9, first 2 shown]
	v_add_f64_e32 v[83:84], v[35:36], v[39:40]
	v_add_f64_e64 v[85:86], v[35:36], -v[39:40]
	v_mul_f64_e32 v[73:74], s[4:5], v[73:74]
	v_add_f64_e32 v[24:25], v[29:30], v[24:25]
	v_add_f64_e32 v[26:27], v[31:32], v[26:27]
	v_mul_f64_e32 v[29:30], s[4:5], v[67:68]
	v_mul_f64_e32 v[31:32], s[4:5], v[69:70]
	;; [unrolled: 1-line block ×3, first 2 shown]
	v_fma_f64 v[173:174], v[43:44], s[22:23], v[101:102]
	v_fma_f64 v[177:178], v[43:44], s[30:31], v[105:106]
	;; [unrolled: 1-line block ×3, first 2 shown]
	v_mul_f64_e32 v[69:70], s[28:29], v[69:70]
	v_fma_f64 v[101:102], v[43:44], s[22:23], -v[101:102]
	v_fma_f64 v[105:106], v[43:44], s[30:31], -v[105:106]
	;; [unrolled: 1-line block ×3, first 2 shown]
	v_fma_f64 v[99:100], v[41:42], s[22:23], v[99:100]
	v_fma_f64 v[175:176], v[41:42], s[30:31], -v[103:104]
	v_fma_f64 v[103:104], v[41:42], s[30:31], v[103:104]
	v_fma_f64 v[179:180], v[41:42], s[20:21], -v[107:108]
	v_fma_f64 v[107:108], v[41:42], s[20:21], v[107:108]
	v_fma_f64 v[183:184], v[41:42], s[18:19], -v[49:50]
	v_fma_f64 v[109:110], v[43:44], s[20:21], -v[109:110]
	v_fma_f64 v[185:186], v[47:48], s[22:23], -v[113:114]
	;; [unrolled: 1-line block ×3, first 2 shown]
	v_fma_f64 v[123:124], v[45:46], s[18:19], v[123:124]
	v_fma_f64 v[199:200], v[45:46], s[30:31], -v[125:126]
	v_fma_f64 v[125:126], v[45:46], s[30:31], v[125:126]
	v_mul_f64_e32 v[139:140], s[4:5], v[79:80]
	v_mul_f64_e32 v[141:142], s[36:37], v[79:80]
	v_mul_f64_e32 v[149:150], s[36:37], v[91:92]
	v_fma_f64 v[187:188], v[75:76], s[30:31], v[115:116]
	v_fma_f64 v[195:196], v[75:76], s[18:19], -v[119:120]
	v_mul_f64_e32 v[143:144], s[0:1], v[79:80]
	v_fma_f64 v[203:204], v[75:76], s[14:15], -v[133:134]
	v_fma_f64 v[133:134], v[75:76], s[14:15], v[133:134]
	v_fma_f64 v[205:206], v[75:76], s[20:21], -v[71:72]
	v_fma_f64 v[71:72], v[75:76], s[20:21], v[71:72]
	v_mul_f64_e32 v[145:146], s[12:13], v[79:80]
	v_mul_f64_e32 v[79:80], s[34:35], v[79:80]
	;; [unrolled: 1-line block ×4, first 2 shown]
	v_add_f64_e32 v[24:25], v[24:25], v[33:34]
	v_add_f64_e32 v[16:17], v[26:27], v[16:17]
	v_fma_f64 v[26:27], v[41:42], s[14:15], -v[95:96]
	v_fma_f64 v[33:34], v[43:44], s[14:15], v[97:98]
	v_fma_f64 v[95:96], v[41:42], s[14:15], v[95:96]
	v_fma_f64 v[97:98], v[43:44], s[14:15], -v[97:98]
	v_fma_f64 v[41:42], v[41:42], s[18:19], v[49:50]
	v_fma_f64 v[49:50], v[43:44], s[18:19], v[65:66]
	v_fma_f64 v[43:44], v[43:44], s[18:19], -v[65:66]
	v_fma_f64 v[65:66], v[45:46], s[22:23], v[111:112]
	v_fma_f64 v[191:192], v[45:46], s[20:21], -v[29:30]
	v_fma_f64 v[193:194], v[47:48], s[20:21], v[31:32]
	v_add_f64_e32 v[171:172], v[0:1], v[171:172]
	v_add_f64_e32 v[173:174], v[2:3], v[173:174]
	v_fma_f64 v[111:112], v[45:46], s[22:23], -v[111:112]
	v_fma_f64 v[29:30], v[45:46], s[20:21], v[29:30]
	v_add_f64_e32 v[99:100], v[0:1], v[99:100]
	v_add_f64_e32 v[175:176], v[0:1], v[175:176]
	;; [unrolled: 1-line block ×3, first 2 shown]
	v_fma_f64 v[201:202], v[45:46], s[14:15], -v[67:68]
	v_fma_f64 v[45:46], v[45:46], s[14:15], v[67:68]
	v_fma_f64 v[67:68], v[47:48], s[22:23], v[113:114]
	;; [unrolled: 1-line block ×3, first 2 shown]
	v_add_f64_e32 v[103:104], v[0:1], v[103:104]
	v_add_f64_e32 v[179:180], v[0:1], v[179:180]
	;; [unrolled: 1-line block ×7, first 2 shown]
	v_fma_f64 v[189:190], v[77:78], s[30:31], -v[117:118]
	v_mul_f64_e32 v[147:148], s[4:5], v[91:92]
	v_mul_f64_e32 v[91:92], s[34:35], v[91:92]
	;; [unrolled: 1-line block ×7, first 2 shown]
	v_add_f64_e32 v[24:25], v[24:25], v[35:36]
	v_add_f64_e32 v[12:13], v[16:17], v[12:13]
	v_fma_f64 v[16:17], v[47:48], s[20:21], -v[31:32]
	v_fma_f64 v[31:32], v[47:48], s[18:19], v[127:128]
	v_add_f64_e32 v[95:96], v[0:1], v[95:96]
	v_add_f64_e32 v[97:98], v[2:3], v[97:98]
	;; [unrolled: 1-line block ×3, first 2 shown]
	v_fma_f64 v[35:36], v[47:48], s[18:19], -v[127:128]
	v_fma_f64 v[127:128], v[47:48], s[30:31], -v[129:130]
	v_fma_f64 v[129:130], v[47:48], s[14:15], v[69:70]
	v_add_f64_e32 v[49:50], v[2:3], v[49:50]
	v_fma_f64 v[47:48], v[47:48], s[14:15], -v[69:70]
	v_add_f64_e32 v[0:1], v[0:1], v[41:42]
	v_add_f64_e32 v[41:42], v[2:3], v[43:44]
	;; [unrolled: 1-line block ×4, first 2 shown]
	v_fma_f64 v[69:70], v[75:76], s[30:31], -v[115:116]
	v_fma_f64 v[115:116], v[75:76], s[18:19], v[119:120]
	v_fma_f64 v[119:120], v[75:76], s[22:23], -v[131:132]
	v_fma_f64 v[131:132], v[75:76], s[22:23], v[131:132]
	v_fma_f64 v[75:76], v[77:78], s[18:19], v[121:122]
	v_add_f64_e32 v[29:30], v[29:30], v[99:100]
	v_add_f64_e32 v[99:100], v[197:198], v[175:176]
	;; [unrolled: 1-line block ×3, first 2 shown]
	v_fma_f64 v[109:110], v[77:78], s[22:23], -v[135:136]
	v_add_f64_e32 v[113:114], v[113:114], v[181:182]
	v_add_f64_e32 v[123:124], v[201:202], v[183:184]
	v_fma_f64 v[33:34], v[77:78], s[18:19], -v[121:122]
	v_fma_f64 v[121:122], v[77:78], s[14:15], -v[137:138]
	v_add_f64_e32 v[107:108], v[125:126], v[107:108]
	v_fma_f64 v[207:208], v[81:82], s[14:15], -v[143:144]
	v_fma_f64 v[143:144], v[81:82], s[14:15], v[143:144]
	v_fma_f64 v[209:210], v[81:82], s[18:19], -v[145:146]
	v_fma_f64 v[145:146], v[81:82], s[18:19], v[145:146]
	v_mul_f64_e32 v[165:166], s[34:35], v[87:88]
	v_mul_f64_e32 v[169:170], s[34:35], v[85:86]
	;; [unrolled: 1-line block ×4, first 2 shown]
	v_add_f64_e32 v[24:25], v[24:25], v[39:40]
	v_add_f64_e32 v[4:5], v[12:13], v[4:5]
	v_fma_f64 v[39:40], v[77:78], s[22:23], v[135:136]
	v_add_f64_e32 v[31:32], v[31:32], v[177:178]
	v_add_f64_e32 v[65:66], v[65:66], v[95:96]
	;; [unrolled: 1-line block ×6, first 2 shown]
	v_fma_f64 v[12:13], v[77:78], s[30:31], v[117:118]
	v_fma_f64 v[117:118], v[77:78], s[14:15], v[137:138]
	v_add_f64_e32 v[111:112], v[199:200], v[179:180]
	v_fma_f64 v[135:136], v[77:78], s[20:21], v[73:74]
	v_add_f64_e32 v[49:50], v[129:130], v[49:50]
	v_fma_f64 v[73:74], v[77:78], s[20:21], -v[73:74]
	v_add_f64_e32 v[0:1], v[45:46], v[0:1]
	v_add_f64_e32 v[41:42], v[47:48], v[41:42]
	;; [unrolled: 1-line block ×6, first 2 shown]
	v_fma_f64 v[77:78], v[81:82], s[20:21], v[139:140]
	v_fma_f64 v[137:138], v[81:82], s[20:21], -v[139:140]
	v_fma_f64 v[139:140], v[81:82], s[30:31], -v[141:142]
	v_fma_f64 v[67:68], v[93:94], s[30:31], v[149:150]
	v_fma_f64 v[141:142], v[81:82], s[30:31], v[141:142]
	;; [unrolled: 1-line block ×3, first 2 shown]
	v_mul_f64_e32 v[85:86], s[24:25], v[85:86]
	v_fma_f64 v[127:128], v[93:94], s[22:23], v[91:92]
	v_fma_f64 v[45:46], v[93:94], s[20:21], -v[147:148]
	v_fma_f64 v[91:92], v[93:94], s[22:23], -v[91:92]
	;; [unrolled: 1-line block ×3, first 2 shown]
	v_add_f64_e32 v[29:30], v[115:116], v[29:30]
	v_add_f64_e32 v[107:108], v[133:134], v[107:108]
	v_fma_f64 v[101:102], v[93:94], s[14:15], -v[151:152]
	v_fma_f64 v[47:48], v[93:94], s[20:21], v[147:148]
	v_fma_f64 v[147:148], v[83:84], s[14:15], -v[159:160]
	v_fma_f64 v[129:130], v[89:90], s[18:19], -v[157:158]
	v_add_f64_e32 v[8:9], v[24:25], v[8:9]
	v_add_f64_e32 v[4:5], v[4:5], v[37:38]
	v_fma_f64 v[24:25], v[81:82], s[22:23], -v[79:80]
	v_fma_f64 v[37:38], v[81:82], s[22:23], v[79:80]
	v_add_f64_e32 v[65:66], v[187:188], v[65:66]
	v_fma_f64 v[81:82], v[93:94], s[14:15], v[151:152]
	v_add_f64_e32 v[97:98], v[195:196], v[97:98]
	v_add_f64_e32 v[75:76], v[75:76], v[171:172]
	v_add_f64_e32 v[26:27], v[69:70], v[26:27]
	v_add_f64_e32 v[69:70], v[119:120], v[99:100]
	v_add_f64_e32 v[31:32], v[39:40], v[31:32]
	v_add_f64_e32 v[39:40], v[131:132], v[103:104]
	v_add_f64_e32 v[99:100], v[203:204], v[111:112]
	v_add_f64_e32 v[103:104], v[117:118], v[113:114]
	v_add_f64_e32 v[111:112], v[205:206], v[123:124]
	v_add_f64_e32 v[49:50], v[135:136], v[49:50]
	v_add_f64_e32 v[95:96], v[189:190], v[95:96]
	v_add_f64_e32 v[0:1], v[71:72], v[0:1]
	v_add_f64_e32 v[41:42], v[73:74], v[41:42]
	v_add_f64_e32 v[43:44], v[121:122], v[43:44]
	v_add_f64_e32 v[35:36], v[109:110], v[35:36]
	v_fma_f64 v[79:80], v[93:94], s[30:31], -v[149:150]
	v_add_f64_e32 v[16:17], v[33:34], v[16:17]
	v_add_f64_e32 v[2:3], v[12:13], v[2:3]
	v_fma_f64 v[93:94], v[83:84], s[18:19], v[155:156]
	v_fma_f64 v[149:150], v[89:90], s[14:15], v[161:162]
	v_fma_f64 v[33:34], v[83:84], s[20:21], -v[163:164]
	v_fma_f64 v[117:118], v[89:90], s[20:21], v[167:168]
	v_fma_f64 v[73:74], v[83:84], s[22:23], -v[165:166]
	v_fma_f64 v[121:122], v[89:90], s[22:23], v[169:170]
	v_fma_f64 v[71:72], v[83:84], s[20:21], v[163:164]
	;; [unrolled: 1-line block ×3, first 2 shown]
	v_fma_f64 v[113:114], v[83:84], s[30:31], -v[87:88]
	v_fma_f64 v[115:116], v[89:90], s[14:15], -v[161:162]
	;; [unrolled: 1-line block ×4, first 2 shown]
	v_fma_f64 v[131:132], v[89:90], s[30:31], v[85:86]
	v_fma_f64 v[85:86], v[89:90], s[30:31], -v[85:86]
	v_add_f64_e32 v[8:9], v[8:9], v[22:23]
	v_add_f64_e32 v[4:5], v[4:5], v[20:21]
	v_fma_f64 v[20:21], v[83:84], s[18:19], -v[155:156]
	v_fma_f64 v[22:23], v[83:84], s[14:15], v[159:160]
	v_add_f64_e32 v[12:13], v[77:78], v[65:66]
	v_fma_f64 v[83:84], v[83:84], s[30:31], v[87:88]
	v_add_f64_e32 v[65:66], v[139:140], v[97:98]
	v_add_f64_e32 v[67:68], v[67:68], v[75:76]
	v_add_f64_e32 v[26:27], v[137:138], v[26:27]
	v_add_f64_e32 v[69:70], v[207:208], v[69:70]
	v_add_f64_e32 v[31:32], v[81:82], v[31:32]
	v_fma_f64 v[87:88], v[89:90], s[18:19], v[157:158]
	v_add_f64_e32 v[75:76], v[209:210], v[99:100]
	v_add_f64_e32 v[77:78], v[105:106], v[103:104]
	;; [unrolled: 1-line block ×38, first 2 shown]
	v_lshrrev_b32_e32 v8, 3, v61
	s_delay_alu instid0(VALU_DEP_1) | instskip(NEXT) | instid1(VALU_DEP_1)
	v_mul_u32_u24_e32 v8, 0x58, v8
	v_or_b32_e32 v8, v8, v28
	s_delay_alu instid0(VALU_DEP_1) | instskip(NEXT) | instid1(VALU_DEP_1)
	v_lshlrev_b32_e32 v8, 4, v8
	v_add3_u32 v8, 0, v8, v64
	ds_store_b128 v8, v[12:15] offset:256
	ds_store_b128 v8, v[24:27] offset:384
	;; [unrolled: 1-line block ×10, first 2 shown]
	ds_store_b128 v8, v[4:7]
	global_wb scope:SCOPE_SE
	s_wait_dscnt 0x0
	s_barrier_signal -1
	s_barrier_wait -1
	global_inv scope:SCOPE_SE
	s_and_saveexec_b32 s33, vcc_lo
	s_cbranch_execz .LBB0_27
; %bb.26:
	v_mul_u32_u24_e32 v0, 10, v61
	v_add_nc_u32_e32 v127, 0xb0, v56
	v_mad_co_u64_u32 v[93:94], null, s16, v56, 0
	v_add_nc_u32_e32 v128, 0x108, v56
	v_add_nc_u32_e32 v138, 0x370, v56
	s_delay_alu instid0(VALU_DEP_4)
	v_mad_co_u64_u32 v[97:98], null, s16, v127, 0
	v_lshlrev_b32_e32 v12, 4, v0
	v_mul_lo_u32 v61, s3, v54
	s_clause 0x9
	global_load_b128 v[20:23], v12, s[8:9] offset:1376
	global_load_b128 v[8:11], v12, s[8:9] offset:1392
	;; [unrolled: 1-line block ×10, first 2 shown]
	ds_load_b128 v[48:51], v62
	ds_load_b128 v[40:43], v63
	ds_load_b128 v[44:47], v58 offset:14080
	ds_load_b128 v[63:66], v58 offset:8448
	;; [unrolled: 1-line block ×3, first 2 shown]
	ds_load_b128 v[71:74], v60
	ds_load_b128 v[75:78], v59
	v_mul_lo_u32 v62, s2, v55
	v_mad_co_u64_u32 v[54:55], null, s2, v54, 0
	v_mad_co_u64_u32 v[99:100], null, s16, v128, 0
	v_add_nc_u32_e32 v125, 0x58, v56
	v_add_nc_u32_e32 v129, 0x160, v56
	v_add_nc_u32_e32 v130, 0x1b8, v56
	ds_load_b128 v[79:82], v58 offset:11264
	ds_load_b128 v[83:86], v58 offset:12672
	;; [unrolled: 1-line block ×3, first 2 shown]
	ds_load_b128 v[57:60], v57
	v_add_nc_u32_e32 v133, 0x210, v56
	v_add_nc_u32_e32 v136, 0x2c0, v56
	;; [unrolled: 1-line block ×3, first 2 shown]
	v_mad_co_u64_u32 v[103:104], null, s16, v130, 0
	v_add_nc_u32_e32 v135, 0x268, v56
	v_add3_u32 v55, v55, v62, v61
	v_lshlrev_b64_e32 v[52:53], 4, v[52:53]
	v_mad_co_u64_u32 v[109:110], null, s16, v136, 0
	s_mov_b32 s3, 0x3fe82f19
	s_delay_alu instid0(VALU_DEP_3)
	v_lshlrev_b64_e32 v[54:55], 4, v[54:55]
	s_mov_b32 s2, s4
	s_wait_loadcnt_dscnt 0x90a
	v_mul_f64_e32 v[91:92], v[20:21], v[50:51]
	v_mul_f64_e32 v[50:51], v[22:23], v[50:51]
	s_wait_loadcnt_dscnt 0x804
	v_mul_f64_e32 v[107:108], v[8:9], v[77:78]
	v_mul_f64_e32 v[77:78], v[10:11], v[77:78]
	s_wait_loadcnt 0x7
	v_mul_f64_e32 v[113:114], v[4:5], v[73:74]
	s_wait_loadcnt 0x4
	v_mul_f64_e32 v[119:120], v[24:25], v[46:47]
	s_wait_dscnt 0x3
	v_mul_f64_e32 v[115:116], v[0:1], v[81:82]
	v_mul_f64_e32 v[73:74], v[6:7], v[73:74]
	s_wait_dscnt 0x2
	v_mul_f64_e32 v[117:118], v[28:29], v[85:86]
	v_mul_f64_e32 v[46:47], v[26:27], v[46:47]
	s_wait_loadcnt 0x0
	v_mul_f64_e32 v[131:132], v[12:13], v[69:70]
	v_mul_f64_e32 v[69:70], v[14:15], v[69:70]
	s_wait_dscnt 0x1
	v_mul_f64_e32 v[121:122], v[36:37], v[89:90]
	v_mul_f64_e32 v[123:124], v[32:33], v[65:66]
	;; [unrolled: 1-line block ×4, first 2 shown]
	v_fma_f64 v[22:23], v[22:23], v[48:49], v[91:92]
	v_fma_f64 v[20:21], v[48:49], v[20:21], -v[50:51]
	v_mad_co_u64_u32 v[49:50], null, s16, v138, 0
	v_mov_b32_e32 v48, v94
	v_mov_b32_e32 v94, v104
	v_mad_co_u64_u32 v[95:96], null, s16, v125, 0
	v_fma_f64 v[10:11], v[10:11], v[75:76], v[107:108]
	v_fma_f64 v[8:9], v[75:76], v[8:9], -v[77:78]
	v_mad_co_u64_u32 v[61:62], null, s17, v56, v[48:49]
	v_mov_b32_e32 v56, v100
	v_mad_co_u64_u32 v[101:102], null, s16, v129, 0
	v_mov_b32_e32 v48, v96
	v_mad_co_u64_u32 v[91:92], null, s16, v135, 0
	v_mov_b32_e32 v51, v98
	v_fma_f64 v[6:7], v[6:7], v[71:72], v[113:114]
	v_fma_f64 v[113:114], v[26:27], v[44:45], v[119:120]
	v_mov_b32_e32 v62, v102
	v_mad_co_u64_u32 v[105:106], null, s16, v133, 0
	v_mad_co_u64_u32 v[26:27], null, s17, v135, v[92:93]
	v_add_co_u32 v27, vcc_lo, s6, v54
	v_mad_co_u64_u32 v[125:126], null, s17, v125, v[48:49]
	s_delay_alu instid0(VALU_DEP_4)
	v_mov_b32_e32 v96, v106
	v_mad_co_u64_u32 v[126:127], null, s17, v127, v[51:52]
	s_wait_dscnt 0x0
	v_mad_co_u64_u32 v[127:128], null, s17, v128, v[56:57]
	v_mad_co_u64_u32 v[128:129], null, s17, v129, v[62:63]
	;; [unrolled: 1-line block ×3, first 2 shown]
	v_add_f64_e32 v[106:107], v[59:60], v[22:23]
	v_add_f64_e32 v[75:76], v[20:21], v[57:58]
	s_wait_alu 0xfffd
	v_add_co_ci_u32_e32 v48, vcc_lo, s7, v55, vcc_lo
	v_mul_f64_e32 v[77:78], v[2:3], v[81:82]
	v_mul_f64_e32 v[81:82], v[30:31], v[85:86]
	v_mad_co_u64_u32 v[85:86], null, s17, v130, v[94:95]
	v_mul_f64_e32 v[129:130], v[16:17], v[42:43]
	v_mul_f64_e32 v[42:43], v[18:19], v[42:43]
	v_fma_f64 v[2:3], v[2:3], v[79:80], v[115:116]
	v_add_co_u32 v213, vcc_lo, v27, v52
	v_fma_f64 v[4:5], v[71:72], v[4:5], -v[73:74]
	v_fma_f64 v[30:31], v[30:31], v[83:84], v[117:118]
	v_mov_b32_e32 v94, v61
	s_wait_alu 0xfffd
	v_add_co_ci_u32_e32 v214, vcc_lo, v48, v53, vcc_lo
	v_fma_f64 v[24:25], v[44:45], v[24:25], -v[46:47]
	v_fma_f64 v[12:13], v[67:68], v[12:13], -v[69:70]
	v_add_f64_e32 v[46:47], v[22:23], v[113:114]
	v_lshlrev_b64_e32 v[48:49], 4, v[49:50]
	v_add_f64_e64 v[22:23], v[22:23], -v[113:114]
	v_mov_b32_e32 v98, v110
	v_mad_co_u64_u32 v[111:112], null, s16, v137, 0
	v_mad_co_u64_u32 v[133:134], null, s17, v133, v[96:97]
	s_delay_alu instid0(VALU_DEP_3)
	v_mad_co_u64_u32 v[115:116], null, s17, v136, v[98:99]
	v_mov_b32_e32 v96, v125
	v_mov_b32_e32 v104, v85
	;; [unrolled: 1-line block ×3, first 2 shown]
	v_fma_f64 v[38:39], v[38:39], v[87:88], v[121:122]
	v_fma_f64 v[36:37], v[87:88], v[36:37], -v[89:90]
	v_fma_f64 v[32:33], v[63:64], v[32:33], -v[65:66]
	v_mov_b32_e32 v110, v115
	v_mad_co_u64_u32 v[116:117], null, s17, v137, v[100:101]
	v_add_f64_e32 v[54:55], v[10:11], v[106:107]
	v_add_f64_e32 v[51:52], v[8:9], v[75:76]
	v_mov_b32_e32 v106, v133
	v_fma_f64 v[0:1], v[79:80], v[0:1], -v[77:78]
	v_fma_f64 v[27:28], v[83:84], v[28:29], -v[81:82]
	v_lshlrev_b64_e32 v[65:66], 4, v[95:96]
	v_lshlrev_b64_e32 v[73:74], 4, v[103:104]
	v_fma_f64 v[18:19], v[18:19], v[40:41], v[129:130]
	v_fma_f64 v[16:17], v[40:41], v[16:17], -v[42:43]
	v_add_f64_e32 v[40:41], v[6:7], v[2:3]
	v_add_f64_e64 v[61:62], v[6:7], -v[2:3]
	v_fma_f64 v[34:35], v[34:35], v[63:64], v[123:124]
	v_fma_f64 v[14:15], v[14:15], v[67:68], v[131:132]
	v_add_f64_e32 v[42:43], v[10:11], v[30:31]
	v_add_f64_e64 v[10:11], v[10:11], -v[30:31]
	v_lshlrev_b64_e32 v[75:76], 4, v[105:106]
	v_mov_b32_e32 v102, v128
	v_add_f64_e64 v[85:86], v[20:21], -v[24:25]
	v_add_f64_e32 v[20:21], v[20:21], v[24:25]
	v_mul_f64_e32 v[103:104], s[18:19], v[46:47]
	v_mul_f64_e32 v[119:120], s[20:21], v[46:47]
	;; [unrolled: 1-line block ×8, first 2 shown]
	v_mov_b32_e32 v92, v26
	v_lshlrev_b64_e32 v[71:72], 4, v[101:102]
	v_lshlrev_b64_e32 v[44:45], 4, v[93:94]
	v_mov_b32_e32 v98, v126
	v_mov_b32_e32 v100, v127
	v_lshlrev_b64_e32 v[77:78], 4, v[91:92]
	v_mov_b32_e32 v112, v116
	v_add_f64_e64 v[79:80], v[36:37], -v[32:33]
	v_lshlrev_b64_e32 v[67:68], 4, v[97:98]
	v_lshlrev_b64_e32 v[69:70], 4, v[99:100]
	v_add_f64_e32 v[97:98], v[36:37], v[32:33]
	v_add_f64_e32 v[6:7], v[6:7], v[54:55]
	;; [unrolled: 1-line block ×3, first 2 shown]
	v_lshlrev_b64_e32 v[53:54], 4, v[109:110]
	v_add_f64_e64 v[81:82], v[4:5], -v[0:1]
	v_add_f64_e64 v[83:84], v[8:9], -v[27:28]
	v_add_f64_e32 v[4:5], v[4:5], v[0:1]
	v_add_f64_e32 v[8:9], v[8:9], v[27:28]
	v_mul_f64_e32 v[109:110], s[12:13], v[22:23]
	v_add_f64_e64 v[89:90], v[16:17], -v[12:13]
	v_add_f64_e32 v[95:96], v[16:17], v[12:13]
	v_mul_f64_e32 v[105:106], s[4:5], v[61:62]
	v_mul_f64_e32 v[22:23], s[0:1], v[22:23]
	v_add_f64_e32 v[63:64], v[38:39], v[34:35]
	v_mul_f64_e32 v[101:102], s[14:15], v[42:43]
	v_mul_f64_e32 v[107:108], s[28:29], v[10:11]
	;; [unrolled: 1-line block ×4, first 2 shown]
	v_add_f64_e32 v[87:88], v[18:19], v[14:15]
	v_add_f64_e64 v[91:92], v[18:19], -v[14:15]
	v_add_f64_e64 v[93:94], v[38:39], -v[34:35]
	v_mul_f64_e32 v[125:126], s[36:37], v[10:11]
	v_mul_f64_e32 v[145:146], s[4:5], v[10:11]
	v_fma_f64 v[179:180], v[85:86], s[26:27], v[103:104]
	v_fma_f64 v[201:202], v[85:86], s[0:1], v[46:47]
	;; [unrolled: 1-line block ×3, first 2 shown]
	s_wait_alu 0xfffe
	v_fma_f64 v[187:188], v[85:86], s[2:3], v[119:120]
	v_fma_f64 v[191:192], v[20:21], s[20:21], v[123:124]
	v_fma_f64 v[119:120], v[85:86], s[4:5], v[119:120]
	v_fma_f64 v[123:124], v[20:21], s[20:21], -v[123:124]
	v_fma_f64 v[193:194], v[85:86], s[36:37], v[129:130]
	v_fma_f64 v[195:196], v[20:21], s[30:31], v[131:132]
	v_fma_f64 v[129:130], v[85:86], s[24:25], v[129:130]
	v_fma_f64 v[131:132], v[20:21], s[30:31], -v[131:132]
	;; [unrolled: 4-line block ×3, first 2 shown]
	v_fma_f64 v[46:47], v[85:86], s[28:29], v[46:47]
	v_add_f64_e32 v[6:7], v[18:19], v[6:7]
	v_add_f64_e32 v[16:17], v[16:17], v[50:51]
	v_mul_f64_e32 v[50:51], s[20:21], v[42:43]
	v_mul_f64_e32 v[42:43], s[22:23], v[42:43]
	;; [unrolled: 1-line block ×5, first 2 shown]
	v_fma_f64 v[185:186], v[20:21], s[18:19], v[109:110]
	v_mul_f64_e32 v[115:116], s[14:15], v[40:41]
	v_mul_f64_e32 v[127:128], s[22:23], v[40:41]
	v_fma_f64 v[181:182], v[4:5], s[20:21], v[105:106]
	v_fma_f64 v[85:86], v[20:21], s[14:15], v[22:23]
	v_mul_f64_e32 v[141:142], s[18:19], v[40:41]
	v_mul_f64_e32 v[143:144], s[26:27], v[61:62]
	v_fma_f64 v[183:184], v[8:9], s[14:15], v[107:108]
	v_mul_f64_e32 v[40:41], s[30:31], v[40:41]
	v_mul_f64_e32 v[121:122], s[0:1], v[61:62]
	;; [unrolled: 1-line block ×4, first 2 shown]
	v_fma_f64 v[177:178], v[83:84], s[0:1], v[101:102]
	v_fma_f64 v[101:102], v[83:84], s[28:29], v[101:102]
	v_fma_f64 v[205:206], v[83:84], s[12:13], v[133:134]
	v_add_f64_e32 v[179:180], v[59:60], v[179:180]
	v_add_f64_e32 v[201:202], v[59:60], v[201:202]
	;; [unrolled: 1-line block ×18, first 2 shown]
	v_fma_f64 v[38:39], v[4:5], s[20:21], -v[105:106]
	v_fma_f64 v[105:106], v[8:9], s[14:15], -v[107:108]
	;; [unrolled: 1-line block ×4, first 2 shown]
	v_fma_f64 v[109:110], v[83:84], s[24:25], v[117:118]
	v_fma_f64 v[22:23], v[8:9], s[30:31], v[125:126]
	;; [unrolled: 1-line block ×3, first 2 shown]
	v_fma_f64 v[125:126], v[8:9], s[30:31], -v[125:126]
	v_fma_f64 v[211:212], v[83:84], s[4:5], v[50:51]
	v_add_f64_e32 v[185:186], v[57:58], v[185:186]
	v_add_f64_e32 v[59:60], v[57:58], v[85:86]
	v_fma_f64 v[209:210], v[8:9], s[18:19], v[18:19]
	v_fma_f64 v[133:134], v[83:84], s[26:27], v[133:134]
	v_fma_f64 v[18:19], v[8:9], s[18:19], -v[18:19]
	v_fma_f64 v[50:51], v[83:84], s[2:3], v[50:51]
	v_mul_f64_e32 v[147:148], s[22:23], v[87:88]
	v_mul_f64_e32 v[151:152], s[18:19], v[87:88]
	;; [unrolled: 1-line block ×10, first 2 shown]
	v_fma_f64 v[175:176], v[81:82], s[2:3], v[99:100]
	v_fma_f64 v[99:100], v[81:82], s[4:5], v[99:100]
	;; [unrolled: 1-line block ×5, first 2 shown]
	v_fma_f64 v[121:122], v[4:5], s[14:15], -v[121:122]
	v_fma_f64 v[203:204], v[81:82], s[10:11], v[127:128]
	v_fma_f64 v[207:208], v[4:5], s[22:23], v[135:136]
	;; [unrolled: 1-line block ×3, first 2 shown]
	v_fma_f64 v[135:136], v[4:5], s[22:23], -v[135:136]
	v_fma_f64 v[85:86], v[81:82], s[12:13], v[141:142]
	v_add_f64_e32 v[6:7], v[34:35], v[6:7]
	v_fma_f64 v[34:35], v[83:84], s[10:11], v[42:43]
	v_add_f64_e32 v[16:17], v[32:33], v[16:17]
	v_fma_f64 v[32:33], v[8:9], s[22:23], -v[10:11]
	v_add_f64_e32 v[107:108], v[57:58], v[107:108]
	v_add_f64_e32 v[20:21], v[57:58], v[20:21]
	v_fma_f64 v[57:58], v[8:9], s[20:21], -v[145:146]
	v_fma_f64 v[145:146], v[8:9], s[20:21], v[145:146]
	v_fma_f64 v[42:43], v[83:84], s[34:35], v[42:43]
	;; [unrolled: 1-line block ×4, first 2 shown]
	v_fma_f64 v[10:11], v[4:5], s[18:19], -v[143:144]
	v_fma_f64 v[143:144], v[81:82], s[36:37], v[40:41]
	v_fma_f64 v[40:41], v[81:82], s[24:25], v[40:41]
	;; [unrolled: 1-line block ×4, first 2 shown]
	v_fma_f64 v[4:5], v[4:5], s[30:31], -v[61:62]
	v_add_f64_e32 v[101:102], v[101:102], v[103:104]
	v_add_f64_e32 v[109:110], v[109:110], v[187:188]
	;; [unrolled: 1-line block ×11, first 2 shown]
	v_fma_f64 v[131:132], v[89:90], s[0:1], v[159:160]
	v_lshlrev_b64_e32 v[55:56], 4, v[111:112]
	v_mul_f64_e32 v[111:112], s[30:31], v[63:64]
	v_mul_f64_e32 v[155:156], s[24:25], v[93:94]
	;; [unrolled: 1-line block ×8, first 2 shown]
	v_add_f64_e32 v[6:7], v[14:15], v[6:7]
	v_add_f64_e32 v[34:35], v[34:35], v[201:202]
	v_add_f64_e32 v[12:13], v[12:13], v[16:17]
	v_mul_f64_e32 v[63:64], s[18:19], v[63:64]
	v_add_f64_e32 v[105:106], v[105:106], v[107:108]
	v_add_f64_e32 v[14:15], v[32:33], v[20:21]
	;; [unrolled: 1-line block ×8, first 2 shown]
	v_fma_f64 v[59:60], v[89:90], s[28:29], v[159:160]
	v_fma_f64 v[159:160], v[89:90], s[2:3], v[87:88]
	;; [unrolled: 1-line block ×3, first 2 shown]
	v_mul_f64_e32 v[93:94], s[12:13], v[93:94]
	v_fma_f64 v[185:186], v[89:90], s[10:11], v[147:148]
	v_fma_f64 v[147:148], v[89:90], s[34:35], v[147:148]
	;; [unrolled: 1-line block ×7, first 2 shown]
	v_fma_f64 v[91:92], v[95:96], s[20:21], -v[91:92]
	v_fma_f64 v[187:188], v[95:96], s[18:19], v[153:154]
	v_fma_f64 v[46:47], v[95:96], s[18:19], -v[153:154]
	v_fma_f64 v[153:154], v[95:96], s[30:31], -v[165:166]
	v_add_f64_e32 v[99:100], v[99:100], v[101:102]
	v_add_f64_e32 v[36:37], v[36:37], v[109:110]
	;; [unrolled: 1-line block ×5, first 2 shown]
	v_fma_f64 v[103:104], v[95:96], s[22:23], v[149:150]
	v_fma_f64 v[133:134], v[95:96], s[14:15], -v[161:162]
	v_add_f64_e32 v[163:164], v[181:182], v[183:184]
	v_add_f64_e32 v[109:110], v[127:128], v[123:124]
	v_fma_f64 v[149:150], v[95:96], s[22:23], -v[149:150]
	v_fma_f64 v[129:130], v[95:96], s[14:15], v[161:162]
	v_add_f64_e32 v[2:3], v[2:3], v[6:7]
	v_add_f64_e32 v[34:35], v[40:41], v[34:35]
	;; [unrolled: 1-line block ×11, first 2 shown]
	v_fma_f64 v[139:140], v[95:96], s[30:31], v[165:166]
	v_add_f64_e32 v[16:17], v[85:86], v[50:51]
	v_add_f64_e32 v[18:19], v[83:84], v[57:58]
	;; [unrolled: 1-line block ×4, first 2 shown]
	v_fma_f64 v[179:180], v[79:80], s[36:37], v[111:112]
	v_fma_f64 v[111:112], v[79:80], s[24:25], v[111:112]
	;; [unrolled: 1-line block ×10, first 2 shown]
	v_fma_f64 v[79:80], v[97:98], s[18:19], -v[93:94]
	v_fma_f64 v[40:41], v[97:98], s[22:23], v[167:168]
	v_fma_f64 v[119:120], v[97:98], s[14:15], v[61:62]
	v_fma_f64 v[61:62], v[97:98], s[14:15], -v[61:62]
	v_add_f64_e32 v[36:37], v[107:108], v[36:37]
	v_add_f64_e32 v[22:23], v[187:188], v[22:23]
	v_fma_f64 v[95:96], v[97:98], s[30:31], v[155:156]
	v_fma_f64 v[155:156], v[97:98], s[30:31], -v[155:156]
	v_fma_f64 v[50:51], v[97:98], s[22:23], -v[167:168]
	v_fma_f64 v[81:82], v[97:98], s[20:21], v[171:172]
	v_fma_f64 v[85:86], v[97:98], s[20:21], -v[171:172]
	v_fma_f64 v[125:126], v[97:98], s[18:19], v[93:94]
	v_add_f64_e32 v[29:30], v[30:31], v[2:3]
	v_add_f64_e32 v[34:35], v[87:88], v[34:35]
	;; [unrolled: 1-line block ×20, first 2 shown]
	v_add_co_u32 v44, vcc_lo, v213, v44
	s_wait_alu 0xfffd
	v_add_co_ci_u32_e32 v45, vcc_lo, v214, v45, vcc_lo
	v_add_co_u32 v65, vcc_lo, v213, v65
	s_wait_alu 0xfffd
	v_add_co_ci_u32_e32 v66, vcc_lo, v214, v66, vcc_lo
	v_add_co_u32 v67, vcc_lo, v213, v67
	v_add_f64_e32 v[10:11], v[32:33], v[36:37]
	v_add_f64_e32 v[8:9], v[40:41], v[22:23]
	s_wait_alu 0xfffd
	v_add_co_ci_u32_e32 v68, vcc_lo, v214, v68, vcc_lo
	v_add_co_u32 v69, vcc_lo, v213, v69
	s_wait_alu 0xfffd
	v_add_co_ci_u32_e32 v70, vcc_lo, v214, v70, vcc_lo
	v_add_f64_e32 v[30:31], v[113:114], v[29:30]
	v_add_f64_e32 v[26:27], v[63:64], v[34:35]
	;; [unrolled: 1-line block ×20, first 2 shown]
	v_add_co_u32 v46, vcc_lo, v213, v71
	s_wait_alu 0xfffd
	v_add_co_ci_u32_e32 v47, vcc_lo, v214, v72, vcc_lo
	v_add_co_u32 v50, vcc_lo, v213, v73
	s_wait_alu 0xfffd
	v_add_co_ci_u32_e32 v51, vcc_lo, v214, v74, vcc_lo
	;; [unrolled: 3-line block ×7, first 2 shown]
	s_clause 0xa
	global_store_b128 v[44:45], v[28:31], off
	global_store_b128 v[65:66], v[24:27], off
	;; [unrolled: 1-line block ×11, first 2 shown]
.LBB0_27:
	s_nop 0
	s_sendmsg sendmsg(MSG_DEALLOC_VGPRS)
	s_endpgm
	.section	.rodata,"a",@progbits
	.p2align	6, 0x0
	.amdhsa_kernel fft_rtc_fwd_len968_factors_2_2_2_11_11_wgs_176_tpt_88_dp_op_CI_CI_sbrr_dirReg
		.amdhsa_group_segment_fixed_size 0
		.amdhsa_private_segment_fixed_size 0
		.amdhsa_kernarg_size 104
		.amdhsa_user_sgpr_count 2
		.amdhsa_user_sgpr_dispatch_ptr 0
		.amdhsa_user_sgpr_queue_ptr 0
		.amdhsa_user_sgpr_kernarg_segment_ptr 1
		.amdhsa_user_sgpr_dispatch_id 0
		.amdhsa_user_sgpr_private_segment_size 0
		.amdhsa_wavefront_size32 1
		.amdhsa_uses_dynamic_stack 0
		.amdhsa_enable_private_segment 0
		.amdhsa_system_sgpr_workgroup_id_x 1
		.amdhsa_system_sgpr_workgroup_id_y 0
		.amdhsa_system_sgpr_workgroup_id_z 0
		.amdhsa_system_sgpr_workgroup_info 0
		.amdhsa_system_vgpr_workitem_id 0
		.amdhsa_next_free_vgpr 215
		.amdhsa_next_free_sgpr 43
		.amdhsa_reserve_vcc 1
		.amdhsa_float_round_mode_32 0
		.amdhsa_float_round_mode_16_64 0
		.amdhsa_float_denorm_mode_32 3
		.amdhsa_float_denorm_mode_16_64 3
		.amdhsa_fp16_overflow 0
		.amdhsa_workgroup_processor_mode 1
		.amdhsa_memory_ordered 1
		.amdhsa_forward_progress 0
		.amdhsa_round_robin_scheduling 0
		.amdhsa_exception_fp_ieee_invalid_op 0
		.amdhsa_exception_fp_denorm_src 0
		.amdhsa_exception_fp_ieee_div_zero 0
		.amdhsa_exception_fp_ieee_overflow 0
		.amdhsa_exception_fp_ieee_underflow 0
		.amdhsa_exception_fp_ieee_inexact 0
		.amdhsa_exception_int_div_zero 0
	.end_amdhsa_kernel
	.text
.Lfunc_end0:
	.size	fft_rtc_fwd_len968_factors_2_2_2_11_11_wgs_176_tpt_88_dp_op_CI_CI_sbrr_dirReg, .Lfunc_end0-fft_rtc_fwd_len968_factors_2_2_2_11_11_wgs_176_tpt_88_dp_op_CI_CI_sbrr_dirReg
                                        ; -- End function
	.section	.AMDGPU.csdata,"",@progbits
; Kernel info:
; codeLenInByte = 10028
; NumSgprs: 45
; NumVgprs: 215
; ScratchSize: 0
; MemoryBound: 1
; FloatMode: 240
; IeeeMode: 1
; LDSByteSize: 0 bytes/workgroup (compile time only)
; SGPRBlocks: 5
; VGPRBlocks: 26
; NumSGPRsForWavesPerEU: 45
; NumVGPRsForWavesPerEU: 215
; Occupancy: 7
; WaveLimiterHint : 1
; COMPUTE_PGM_RSRC2:SCRATCH_EN: 0
; COMPUTE_PGM_RSRC2:USER_SGPR: 2
; COMPUTE_PGM_RSRC2:TRAP_HANDLER: 0
; COMPUTE_PGM_RSRC2:TGID_X_EN: 1
; COMPUTE_PGM_RSRC2:TGID_Y_EN: 0
; COMPUTE_PGM_RSRC2:TGID_Z_EN: 0
; COMPUTE_PGM_RSRC2:TIDIG_COMP_CNT: 0
	.text
	.p2alignl 7, 3214868480
	.fill 96, 4, 3214868480
	.type	__hip_cuid_bf113e56ace3d71d,@object ; @__hip_cuid_bf113e56ace3d71d
	.section	.bss,"aw",@nobits
	.globl	__hip_cuid_bf113e56ace3d71d
__hip_cuid_bf113e56ace3d71d:
	.byte	0                               ; 0x0
	.size	__hip_cuid_bf113e56ace3d71d, 1

	.ident	"AMD clang version 19.0.0git (https://github.com/RadeonOpenCompute/llvm-project roc-6.4.0 25133 c7fe45cf4b819c5991fe208aaa96edf142730f1d)"
	.section	".note.GNU-stack","",@progbits
	.addrsig
	.addrsig_sym __hip_cuid_bf113e56ace3d71d
	.amdgpu_metadata
---
amdhsa.kernels:
  - .args:
      - .actual_access:  read_only
        .address_space:  global
        .offset:         0
        .size:           8
        .value_kind:     global_buffer
      - .offset:         8
        .size:           8
        .value_kind:     by_value
      - .actual_access:  read_only
        .address_space:  global
        .offset:         16
        .size:           8
        .value_kind:     global_buffer
      - .actual_access:  read_only
        .address_space:  global
        .offset:         24
        .size:           8
        .value_kind:     global_buffer
      - .actual_access:  read_only
        .address_space:  global
        .offset:         32
        .size:           8
        .value_kind:     global_buffer
      - .offset:         40
        .size:           8
        .value_kind:     by_value
      - .actual_access:  read_only
        .address_space:  global
        .offset:         48
        .size:           8
        .value_kind:     global_buffer
      - .actual_access:  read_only
        .address_space:  global
        .offset:         56
        .size:           8
        .value_kind:     global_buffer
      - .offset:         64
        .size:           4
        .value_kind:     by_value
      - .actual_access:  read_only
        .address_space:  global
        .offset:         72
        .size:           8
        .value_kind:     global_buffer
      - .actual_access:  read_only
        .address_space:  global
        .offset:         80
        .size:           8
        .value_kind:     global_buffer
      - .actual_access:  read_only
        .address_space:  global
        .offset:         88
        .size:           8
        .value_kind:     global_buffer
      - .actual_access:  write_only
        .address_space:  global
        .offset:         96
        .size:           8
        .value_kind:     global_buffer
    .group_segment_fixed_size: 0
    .kernarg_segment_align: 8
    .kernarg_segment_size: 104
    .language:       OpenCL C
    .language_version:
      - 2
      - 0
    .max_flat_workgroup_size: 176
    .name:           fft_rtc_fwd_len968_factors_2_2_2_11_11_wgs_176_tpt_88_dp_op_CI_CI_sbrr_dirReg
    .private_segment_fixed_size: 0
    .sgpr_count:     45
    .sgpr_spill_count: 0
    .symbol:         fft_rtc_fwd_len968_factors_2_2_2_11_11_wgs_176_tpt_88_dp_op_CI_CI_sbrr_dirReg.kd
    .uniform_work_group_size: 1
    .uses_dynamic_stack: false
    .vgpr_count:     215
    .vgpr_spill_count: 0
    .wavefront_size: 32
    .workgroup_processor_mode: 1
amdhsa.target:   amdgcn-amd-amdhsa--gfx1201
amdhsa.version:
  - 1
  - 2
...

	.end_amdgpu_metadata
